;; amdgpu-corpus repo=ROCm/rocFFT kind=compiled arch=gfx906 opt=O3
	.text
	.amdgcn_target "amdgcn-amd-amdhsa--gfx906"
	.amdhsa_code_object_version 6
	.protected	fft_rtc_back_len2500_factors_10_5_10_5_wgs_250_tpt_250_halfLds_half_op_CI_CI_unitstride_sbrr_R2C_dirReg ; -- Begin function fft_rtc_back_len2500_factors_10_5_10_5_wgs_250_tpt_250_halfLds_half_op_CI_CI_unitstride_sbrr_R2C_dirReg
	.globl	fft_rtc_back_len2500_factors_10_5_10_5_wgs_250_tpt_250_halfLds_half_op_CI_CI_unitstride_sbrr_R2C_dirReg
	.p2align	8
	.type	fft_rtc_back_len2500_factors_10_5_10_5_wgs_250_tpt_250_halfLds_half_op_CI_CI_unitstride_sbrr_R2C_dirReg,@function
fft_rtc_back_len2500_factors_10_5_10_5_wgs_250_tpt_250_halfLds_half_op_CI_CI_unitstride_sbrr_R2C_dirReg: ; @fft_rtc_back_len2500_factors_10_5_10_5_wgs_250_tpt_250_halfLds_half_op_CI_CI_unitstride_sbrr_R2C_dirReg
; %bb.0:
	s_load_dwordx4 s[8:11], s[4:5], 0x58
	s_load_dwordx4 s[12:15], s[4:5], 0x0
	;; [unrolled: 1-line block ×3, first 2 shown]
	v_mul_u32_u24_e32 v1, 0x107, v0
	v_mov_b32_e32 v5, 0
	v_mov_b32_e32 v8, 0
	s_waitcnt lgkmcnt(0)
	v_cmp_lt_u64_e64 s[0:1], s[14:15], 2
	v_add_u32_sdwa v10, s6, v1 dst_sel:DWORD dst_unused:UNUSED_PAD src0_sel:DWORD src1_sel:WORD_1
	v_mov_b32_e32 v11, v5
	s_and_b64 vcc, exec, s[0:1]
	v_mov_b32_e32 v9, 0
	s_cbranch_vccnz .LBB0_8
; %bb.1:
	s_load_dwordx2 s[0:1], s[4:5], 0x10
	s_add_u32 s2, s18, 8
	s_addc_u32 s3, s19, 0
	s_add_u32 s6, s16, 8
	s_addc_u32 s7, s17, 0
	v_mov_b32_e32 v8, 0
	s_waitcnt lgkmcnt(0)
	s_add_u32 s20, s0, 8
	v_mov_b32_e32 v9, 0
	v_mov_b32_e32 v1, v8
	s_addc_u32 s21, s1, 0
	s_mov_b64 s[22:23], 1
	v_mov_b32_e32 v2, v9
.LBB0_2:                                ; =>This Inner Loop Header: Depth=1
	s_load_dwordx2 s[24:25], s[20:21], 0x0
                                        ; implicit-def: $vgpr3_vgpr4
	s_waitcnt lgkmcnt(0)
	v_or_b32_e32 v6, s25, v11
	v_cmp_ne_u64_e32 vcc, 0, v[5:6]
	s_and_saveexec_b64 s[0:1], vcc
	s_xor_b64 s[26:27], exec, s[0:1]
	s_cbranch_execz .LBB0_4
; %bb.3:                                ;   in Loop: Header=BB0_2 Depth=1
	v_cvt_f32_u32_e32 v3, s24
	v_cvt_f32_u32_e32 v4, s25
	s_sub_u32 s0, 0, s24
	s_subb_u32 s1, 0, s25
	v_mac_f32_e32 v3, 0x4f800000, v4
	v_rcp_f32_e32 v3, v3
	v_mul_f32_e32 v3, 0x5f7ffffc, v3
	v_mul_f32_e32 v4, 0x2f800000, v3
	v_trunc_f32_e32 v4, v4
	v_mac_f32_e32 v3, 0xcf800000, v4
	v_cvt_u32_f32_e32 v4, v4
	v_cvt_u32_f32_e32 v3, v3
	v_mul_lo_u32 v6, s0, v4
	v_mul_hi_u32 v7, s0, v3
	v_mul_lo_u32 v13, s1, v3
	v_mul_lo_u32 v12, s0, v3
	v_add_u32_e32 v6, v7, v6
	v_add_u32_e32 v6, v6, v13
	v_mul_hi_u32 v7, v3, v12
	v_mul_lo_u32 v13, v3, v6
	v_mul_hi_u32 v15, v3, v6
	v_mul_hi_u32 v14, v4, v12
	v_mul_lo_u32 v12, v4, v12
	v_mul_hi_u32 v16, v4, v6
	v_add_co_u32_e32 v7, vcc, v7, v13
	v_addc_co_u32_e32 v13, vcc, 0, v15, vcc
	v_mul_lo_u32 v6, v4, v6
	v_add_co_u32_e32 v7, vcc, v7, v12
	v_addc_co_u32_e32 v7, vcc, v13, v14, vcc
	v_addc_co_u32_e32 v12, vcc, 0, v16, vcc
	v_add_co_u32_e32 v6, vcc, v7, v6
	v_addc_co_u32_e32 v7, vcc, 0, v12, vcc
	v_add_co_u32_e32 v3, vcc, v3, v6
	v_addc_co_u32_e32 v4, vcc, v4, v7, vcc
	v_mul_lo_u32 v6, s0, v4
	v_mul_hi_u32 v7, s0, v3
	v_mul_lo_u32 v12, s1, v3
	v_mul_lo_u32 v13, s0, v3
	v_add_u32_e32 v6, v7, v6
	v_add_u32_e32 v6, v6, v12
	v_mul_lo_u32 v14, v3, v6
	v_mul_hi_u32 v15, v3, v13
	v_mul_hi_u32 v16, v3, v6
	v_mul_hi_u32 v12, v4, v13
	v_mul_lo_u32 v13, v4, v13
	v_mul_hi_u32 v7, v4, v6
	v_add_co_u32_e32 v14, vcc, v15, v14
	v_addc_co_u32_e32 v15, vcc, 0, v16, vcc
	v_mul_lo_u32 v6, v4, v6
	v_add_co_u32_e32 v13, vcc, v14, v13
	v_addc_co_u32_e32 v12, vcc, v15, v12, vcc
	v_addc_co_u32_e32 v7, vcc, 0, v7, vcc
	v_add_co_u32_e32 v6, vcc, v12, v6
	v_addc_co_u32_e32 v7, vcc, 0, v7, vcc
	v_add_co_u32_e32 v6, vcc, v3, v6
	v_addc_co_u32_e32 v7, vcc, v4, v7, vcc
	v_mad_u64_u32 v[3:4], s[0:1], v10, v7, 0
	v_mul_hi_u32 v12, v10, v6
	v_add_co_u32_e32 v12, vcc, v12, v3
	v_addc_co_u32_e32 v13, vcc, 0, v4, vcc
	v_mad_u64_u32 v[3:4], s[0:1], v11, v6, 0
	v_mad_u64_u32 v[6:7], s[0:1], v11, v7, 0
	v_add_co_u32_e32 v3, vcc, v12, v3
	v_addc_co_u32_e32 v3, vcc, v13, v4, vcc
	v_addc_co_u32_e32 v4, vcc, 0, v7, vcc
	v_add_co_u32_e32 v6, vcc, v3, v6
	v_addc_co_u32_e32 v7, vcc, 0, v4, vcc
	v_mul_lo_u32 v12, s25, v6
	v_mul_lo_u32 v13, s24, v7
	v_mad_u64_u32 v[3:4], s[0:1], s24, v6, 0
	v_add3_u32 v4, v4, v13, v12
	v_sub_u32_e32 v12, v11, v4
	v_mov_b32_e32 v13, s25
	v_sub_co_u32_e32 v3, vcc, v10, v3
	v_subb_co_u32_e64 v12, s[0:1], v12, v13, vcc
	v_subrev_co_u32_e64 v13, s[0:1], s24, v3
	v_subbrev_co_u32_e64 v12, s[0:1], 0, v12, s[0:1]
	v_cmp_le_u32_e64 s[0:1], s25, v12
	v_cndmask_b32_e64 v14, 0, -1, s[0:1]
	v_cmp_le_u32_e64 s[0:1], s24, v13
	v_cndmask_b32_e64 v13, 0, -1, s[0:1]
	v_cmp_eq_u32_e64 s[0:1], s25, v12
	v_cndmask_b32_e64 v12, v14, v13, s[0:1]
	v_add_co_u32_e64 v13, s[0:1], 2, v6
	v_addc_co_u32_e64 v14, s[0:1], 0, v7, s[0:1]
	v_add_co_u32_e64 v15, s[0:1], 1, v6
	v_addc_co_u32_e64 v16, s[0:1], 0, v7, s[0:1]
	v_subb_co_u32_e32 v4, vcc, v11, v4, vcc
	v_cmp_ne_u32_e64 s[0:1], 0, v12
	v_cmp_le_u32_e32 vcc, s25, v4
	v_cndmask_b32_e64 v12, v16, v14, s[0:1]
	v_cndmask_b32_e64 v14, 0, -1, vcc
	v_cmp_le_u32_e32 vcc, s24, v3
	v_cndmask_b32_e64 v3, 0, -1, vcc
	v_cmp_eq_u32_e32 vcc, s25, v4
	v_cndmask_b32_e32 v3, v14, v3, vcc
	v_cmp_ne_u32_e32 vcc, 0, v3
	v_cndmask_b32_e64 v3, v15, v13, s[0:1]
	v_cndmask_b32_e32 v4, v7, v12, vcc
	v_cndmask_b32_e32 v3, v6, v3, vcc
.LBB0_4:                                ;   in Loop: Header=BB0_2 Depth=1
	s_andn2_saveexec_b64 s[0:1], s[26:27]
	s_cbranch_execz .LBB0_6
; %bb.5:                                ;   in Loop: Header=BB0_2 Depth=1
	v_cvt_f32_u32_e32 v3, s24
	s_sub_i32 s26, 0, s24
	v_rcp_iflag_f32_e32 v3, v3
	v_mul_f32_e32 v3, 0x4f7ffffe, v3
	v_cvt_u32_f32_e32 v3, v3
	v_mul_lo_u32 v4, s26, v3
	v_mul_hi_u32 v4, v3, v4
	v_add_u32_e32 v3, v3, v4
	v_mul_hi_u32 v3, v10, v3
	v_mul_lo_u32 v4, v3, s24
	v_add_u32_e32 v6, 1, v3
	v_sub_u32_e32 v4, v10, v4
	v_subrev_u32_e32 v7, s24, v4
	v_cmp_le_u32_e32 vcc, s24, v4
	v_cndmask_b32_e32 v4, v4, v7, vcc
	v_cndmask_b32_e32 v3, v3, v6, vcc
	v_add_u32_e32 v6, 1, v3
	v_cmp_le_u32_e32 vcc, s24, v4
	v_cndmask_b32_e32 v3, v3, v6, vcc
	v_mov_b32_e32 v4, v5
.LBB0_6:                                ;   in Loop: Header=BB0_2 Depth=1
	s_or_b64 exec, exec, s[0:1]
	v_mul_lo_u32 v12, v4, s24
	v_mul_lo_u32 v13, v3, s25
	v_mad_u64_u32 v[6:7], s[0:1], v3, s24, 0
	s_load_dwordx2 s[0:1], s[6:7], 0x0
	s_load_dwordx2 s[24:25], s[2:3], 0x0
	v_add3_u32 v7, v7, v13, v12
	v_sub_co_u32_e32 v6, vcc, v10, v6
	v_subb_co_u32_e32 v7, vcc, v11, v7, vcc
	s_waitcnt lgkmcnt(0)
	v_mul_lo_u32 v10, s0, v7
	v_mul_lo_u32 v11, s1, v6
	v_mad_u64_u32 v[8:9], s[0:1], s0, v6, v[8:9]
	v_mul_lo_u32 v7, s24, v7
	v_mul_lo_u32 v12, s25, v6
	v_mad_u64_u32 v[1:2], s[0:1], s24, v6, v[1:2]
	s_add_u32 s22, s22, 1
	s_addc_u32 s23, s23, 0
	s_add_u32 s2, s2, 8
	v_add3_u32 v2, v12, v2, v7
	s_addc_u32 s3, s3, 0
	v_mov_b32_e32 v6, s14
	s_add_u32 s6, s6, 8
	v_mov_b32_e32 v7, s15
	s_addc_u32 s7, s7, 0
	v_cmp_ge_u64_e32 vcc, s[22:23], v[6:7]
	s_add_u32 s20, s20, 8
	v_add3_u32 v9, v11, v9, v10
	s_addc_u32 s21, s21, 0
	s_cbranch_vccnz .LBB0_9
; %bb.7:                                ;   in Loop: Header=BB0_2 Depth=1
	v_mov_b32_e32 v11, v4
	v_mov_b32_e32 v10, v3
	s_branch .LBB0_2
.LBB0_8:
	v_mov_b32_e32 v1, v8
	v_mov_b32_e32 v3, v10
	;; [unrolled: 1-line block ×4, first 2 shown]
.LBB0_9:
	s_load_dwordx2 s[4:5], s[4:5], 0x28
	s_lshl_b64 s[6:7], s[14:15], 3
	s_add_u32 s2, s18, s6
	s_addc_u32 s3, s19, s7
                                        ; implicit-def: $vgpr5
                                        ; implicit-def: $vgpr7
	s_waitcnt lgkmcnt(0)
	v_cmp_gt_u64_e64 s[0:1], s[4:5], v[3:4]
	v_cmp_le_u64_e32 vcc, s[4:5], v[3:4]
	s_and_saveexec_b64 s[4:5], vcc
	s_xor_b64 s[4:5], exec, s[4:5]
; %bb.10:
	s_mov_b32 s14, 0x10624de
	v_mul_hi_u32 v5, v0, s14
                                        ; implicit-def: $vgpr8_vgpr9
	v_mul_u32_u24_e32 v5, 0xfa, v5
	v_sub_u32_e32 v5, v0, v5
	v_add_u32_e32 v7, 0xfa, v5
                                        ; implicit-def: $vgpr0
; %bb.11:
	s_andn2_saveexec_b64 s[4:5], s[4:5]
	s_cbranch_execz .LBB0_13
; %bb.12:
	s_add_u32 s6, s16, s6
	s_addc_u32 s7, s17, s7
	s_load_dwordx2 s[6:7], s[6:7], 0x0
	s_mov_b32 s14, 0x10624de
	v_mul_hi_u32 v5, v0, s14
	s_waitcnt lgkmcnt(0)
	v_mul_lo_u32 v10, s7, v3
	v_mul_lo_u32 v11, s6, v4
	v_mad_u64_u32 v[6:7], s[6:7], s6, v3, 0
	v_mul_u32_u24_e32 v5, 0xfa, v5
	v_sub_u32_e32 v5, v0, v5
	v_add3_u32 v7, v7, v11, v10
	v_lshlrev_b64 v[6:7], 2, v[6:7]
	v_mov_b32_e32 v0, s9
	v_add_co_u32_e32 v10, vcc, s8, v6
	v_addc_co_u32_e32 v0, vcc, v0, v7, vcc
	v_lshlrev_b64 v[6:7], 2, v[8:9]
	s_movk_i32 s6, 0x1000
	v_add_co_u32_e32 v6, vcc, v10, v6
	v_addc_co_u32_e32 v0, vcc, v0, v7, vcc
	v_lshlrev_b32_e32 v10, 2, v5
	v_add_co_u32_e32 v6, vcc, v6, v10
	v_addc_co_u32_e32 v7, vcc, 0, v0, vcc
	v_add_co_u32_e32 v8, vcc, s6, v6
	v_addc_co_u32_e32 v9, vcc, 0, v7, vcc
	global_load_dword v0, v[6:7], off
	global_load_dword v11, v[6:7], off offset:1000
	global_load_dword v12, v[6:7], off offset:2000
	;; [unrolled: 1-line block ×7, first 2 shown]
	v_add_co_u32_e32 v6, vcc, 0x2000, v6
	v_addc_co_u32_e32 v7, vcc, 0, v7, vcc
	global_load_dword v18, v[8:9], off offset:3904
	global_load_dword v19, v[6:7], off offset:808
	v_add_u32_e32 v6, 0, v10
	v_add_u32_e32 v7, 0xfa, v5
	;; [unrolled: 1-line block ×5, first 2 shown]
	s_waitcnt vmcnt(8)
	ds_write2_b32 v6, v0, v11 offset1:250
	s_waitcnt vmcnt(6)
	ds_write2_b32 v8, v12, v13 offset0:4 offset1:254
	s_waitcnt vmcnt(4)
	ds_write2_b32 v9, v14, v15 offset1:250
	s_waitcnt vmcnt(2)
	ds_write2_b32 v10, v16, v17 offset0:4 offset1:254
	v_add_u32_e32 v0, 0x1f40, v6
	s_waitcnt vmcnt(0)
	ds_write2_b32 v0, v18, v19 offset1:250
.LBB0_13:
	s_or_b64 exec, exec, s[4:5]
	v_lshlrev_b32_e32 v8, 2, v5
	v_add_u32_e32 v0, 0, v8
	v_add_u32_e32 v13, 0x7c0, v0
	s_load_dwordx2 s[2:3], s[2:3], 0x0
	s_waitcnt lgkmcnt(0)
	s_barrier
	ds_read2_b32 v[9:10], v0 offset1:250
	ds_read2_b32 v[15:16], v13 offset0:4 offset1:254
	v_add_u32_e32 v12, 0xfa0, v0
	ds_read2_b32 v[17:18], v12 offset1:250
	v_add_u32_e32 v6, 0x1760, v0
	ds_read2_b32 v[19:20], v6 offset0:4 offset1:254
	s_waitcnt lgkmcnt(2)
	v_pk_add_f16 v14, v10, v16
	v_pk_add_f16 v11, v9, v15
	s_waitcnt lgkmcnt(1)
	v_pk_add_f16 v23, v14, v18
	v_add_u32_e32 v14, 0x1f40, v0
	ds_read2_b32 v[21:22], v14 offset1:250
	v_pk_add_f16 v11, v11, v17
	v_sub_f16_e32 v26, v15, v17
	s_waitcnt lgkmcnt(1)
	v_add_f16_e32 v31, v18, v20
	v_sub_f16_e32 v33, v16, v18
	s_waitcnt lgkmcnt(0)
	v_add_f16_e32 v42, v16, v22
	v_pk_add_f16 v11, v11, v19
	v_pk_add_f16 v23, v23, v20
	v_sub_f16_e32 v44, v21, v19
	v_sub_f16_e32 v47, v22, v20
	v_add_f16_e32 v24, v17, v19
	v_sub_f16_sdwa v25, v17, v19 dst_sel:DWORD dst_unused:UNUSED_PAD src0_sel:WORD_1 src1_sel:WORD_1
	v_sub_f16_e32 v27, v17, v15
	v_add_f16_sdwa v28, v17, v19 dst_sel:DWORD dst_unused:UNUSED_PAD src0_sel:WORD_1 src1_sel:WORD_1
	v_sub_f16_e32 v29, v17, v19
	v_sub_f16_sdwa v30, v15, v17 dst_sel:DWORD dst_unused:UNUSED_PAD src0_sel:WORD_1 src1_sel:WORD_1
	v_sub_f16_sdwa v17, v17, v15 dst_sel:DWORD dst_unused:UNUSED_PAD src0_sel:WORD_1 src1_sel:WORD_1
	;; [unrolled: 1-line block ×3, first 2 shown]
	v_sub_f16_e32 v34, v18, v16
	v_add_f16_sdwa v35, v18, v20 dst_sel:DWORD dst_unused:UNUSED_PAD src0_sel:WORD_1 src1_sel:WORD_1
	v_sub_f16_e32 v36, v18, v20
	v_sub_f16_sdwa v37, v16, v18 dst_sel:DWORD dst_unused:UNUSED_PAD src0_sel:WORD_1 src1_sel:WORD_1
	v_sub_f16_sdwa v18, v18, v16 dst_sel:DWORD dst_unused:UNUSED_PAD src0_sel:WORD_1 src1_sel:WORD_1
	;; [unrolled: 1-line block ×3, first 2 shown]
	v_add_f16_e32 v39, v15, v21
	v_sub_f16_e32 v40, v15, v21
	v_add_f16_sdwa v15, v15, v21 dst_sel:DWORD dst_unused:UNUSED_PAD src0_sel:WORD_1 src1_sel:WORD_1
	v_sub_f16_sdwa v41, v16, v22 dst_sel:DWORD dst_unused:UNUSED_PAD src0_sel:WORD_1 src1_sel:WORD_1
	v_sub_f16_e32 v43, v16, v22
	v_add_f16_sdwa v16, v16, v22 dst_sel:DWORD dst_unused:UNUSED_PAD src0_sel:WORD_1 src1_sel:WORD_1
	v_sub_f16_e32 v45, v19, v21
	v_sub_f16_sdwa v46, v21, v19 dst_sel:DWORD dst_unused:UNUSED_PAD src0_sel:WORD_1 src1_sel:WORD_1
	v_sub_f16_sdwa v19, v19, v21 dst_sel:DWORD dst_unused:UNUSED_PAD src0_sel:WORD_1 src1_sel:WORD_1
	v_sub_f16_e32 v48, v20, v22
	v_sub_f16_sdwa v49, v22, v20 dst_sel:DWORD dst_unused:UNUSED_PAD src0_sel:WORD_1 src1_sel:WORD_1
	v_sub_f16_sdwa v20, v20, v22 dst_sel:DWORD dst_unused:UNUSED_PAD src0_sel:WORD_1 src1_sel:WORD_1
	v_pk_add_f16 v11, v11, v21
	v_pk_add_f16 v21, v23, v22
	v_add_f16_e32 v22, v26, v44
	v_add_f16_e32 v26, v33, v47
	v_fma_f16 v31, v31, -0.5, v10
	v_fma_f16 v33, v42, -0.5, v10
	v_lshrrev_b32_e32 v10, 16, v10
	v_add_f16_e32 v23, v30, v46
	v_fma_f16 v24, v24, -0.5, v9
	v_fma_f16 v30, v39, -0.5, v9
	v_lshrrev_b32_e32 v9, 16, v9
	s_movk_i32 s7, 0x3b9c
	v_fma_f16 v35, v35, -0.5, v10
	s_mov_b32 s6, 0xbb9c
	s_movk_i32 s8, 0x38b4
	v_fma_f16 v42, v43, s7, v35
	v_fma_f16 v28, v28, -0.5, v9
	v_fma_f16 v9, v15, -0.5, v9
	;; [unrolled: 1-line block ×3, first 2 shown]
	v_add_f16_e32 v37, v37, v49
	s_mov_b32 s5, 0xb8b4
	s_movk_i32 s4, 0x34f2
	v_fma_f16 v39, v41, s6, v31
	v_fma_f16 v42, v36, s8, v42
	v_add_f16_e32 v27, v27, v45
	v_fma_f16 v45, v25, s7, v30
	v_fma_f16 v30, v25, s6, v30
	v_add_f16_e32 v15, v17, v19
	;; [unrolled: 3-line block ×3, first 2 shown]
	v_fma_f16 v18, v36, s6, v10
	v_fma_f16 v39, v32, s5, v39
	;; [unrolled: 1-line block ×11, first 2 shown]
	s_movk_i32 s15, 0x3a79
	v_mul_f16_e32 v44, 0xb8b4, v42
	v_fma_f16 v45, v27, s4, v45
	v_fma_f16 v27, v27, s4, v30
	;; [unrolled: 1-line block ×4, first 2 shown]
	v_add_f16_e32 v15, v34, v48
	v_fma_f16 v19, v41, s5, v19
	v_fma_f16 v30, v32, s6, v33
	;; [unrolled: 1-line block ×5, first 2 shown]
	v_mul_f16_e32 v39, 0x38b4, v39
	v_fma_f16 v19, v15, s4, v19
	v_fma_f16 v30, v41, s8, v30
	;; [unrolled: 1-line block ×3, first 2 shown]
	v_mul_f16_e32 v16, 0xbb9c, v18
	v_mul_f16_e32 v18, 0x34f2, v18
	v_fma_f16 v39, v42, s15, v39
	v_fma_f16 v42, v38, s6, v24
	;; [unrolled: 1-line block ×6, first 2 shown]
	s_mov_b32 s9, 0xb4f2
	v_mul_f16_e32 v19, 0xbb9c, v10
	v_mul_f16_e32 v10, 0xb4f2, v10
	v_fma_f16 v42, v25, s5, v42
	v_fma_f16 v46, v29, s8, v46
	;; [unrolled: 1-line block ×6, first 2 shown]
	v_add_f16_e32 v15, v27, v19
	v_add_f16_e32 v20, v9, v10
	;; [unrolled: 1-line block ×4, first 2 shown]
	v_pack_b32_f16 v15, v15, v20
	v_add_f16_e32 v20, v45, v16
	v_add_f16_e32 v30, v17, v18
	v_pack_b32_f16 v47, v47, v49
	v_mad_u32_u24 v49, v5, 36, v0
	v_pack_b32_f16 v20, v20, v30
	s_barrier
	ds_write2_b32 v49, v20, v15 offset0:2 offset1:3
	v_fma_f16 v20, v40, s6, v28
	v_fma_f16 v15, v38, s7, v24
	;; [unrolled: 1-line block ×12, first 2 shown]
	s_mov_b32 s14, 0xba79
	v_mul_f16_e32 v24, 0xb8b4, v23
	v_mul_f16_e32 v23, 0xba79, v23
	v_fma_f16 v24, v22, s14, v24
	v_fma_f16 v22, v22, s8, v23
	v_pk_add_f16 v50, v11, v21
	v_pk_add_f16 v11, v11, v21 neg_lo:[0,1] neg_hi:[0,1]
	v_add_f16_e32 v21, v15, v24
	v_add_f16_e32 v23, v20, v22
	v_pack_b32_f16 v21, v21, v23
	v_sub_f16_e32 v19, v27, v19
	v_sub_f16_e32 v15, v15, v24
	;; [unrolled: 1-line block ×4, first 2 shown]
	ds_write2_b32 v49, v21, v11 offset0:4 offset1:5
	v_sub_f16_e32 v11, v42, v44
	v_sub_f16_e32 v16, v45, v16
	;; [unrolled: 1-line block ×4, first 2 shown]
	v_pack_b32_f16 v10, v15, v10
	v_pack_b32_f16 v9, v19, v9
	s_movk_i32 s16, 0xcd
	v_pack_b32_f16 v16, v16, v17
	v_pack_b32_f16 v11, v11, v21
	ds_write2_b32 v49, v9, v10 offset0:8 offset1:9
	v_mul_lo_u16_sdwa v9, v5, s16 dst_sel:DWORD dst_unused:UNUSED_PAD src0_sel:BYTE_0 src1_sel:DWORD
	ds_write2_b32 v49, v11, v16 offset0:6 offset1:7
	v_lshrrev_b16_e32 v11, 11, v9
	v_mul_lo_u16_e32 v9, 10, v11
	v_sub_u16_e32 v27, v5, v9
	v_mov_b32_e32 v9, 4
	v_lshlrev_b32_sdwa v9, v9, v27 dst_sel:DWORD dst_unused:UNUSED_PAD src0_sel:DWORD src1_sel:BYTE_0
	ds_write2_b32 v49, v50, v47 offset1:1
	s_waitcnt lgkmcnt(0)
	s_barrier
	global_load_dwordx4 v[15:18], v9, s[12:13]
	s_mov_b32 s16, 0xcccd
	v_mul_u32_u24_sdwa v9, v7, s16 dst_sel:DWORD dst_unused:UNUSED_PAD src0_sel:WORD_0 src1_sel:DWORD
	v_lshrrev_b32_e32 v28, 19, v9
	v_mul_lo_u16_e32 v9, 10, v28
	v_sub_u16_e32 v29, v7, v9
	v_lshlrev_b32_e32 v9, 4, v29
	global_load_dwordx4 v[19:22], v9, s[12:13]
	ds_read2_b32 v[9:10], v13 offset0:4 offset1:254
	ds_read2_b32 v[23:24], v12 offset1:250
	v_mul_u32_u24_e32 v11, 0xc8, v11
	s_waitcnt lgkmcnt(1)
	v_lshrrev_b32_e32 v25, 16, v9
	s_waitcnt vmcnt(1)
	v_mul_f16_sdwa v26, v15, v9 dst_sel:DWORD dst_unused:UNUSED_PAD src0_sel:WORD_1 src1_sel:DWORD
	v_fma_f16 v30, v15, v25, -v26
	v_mul_f16_sdwa v25, v15, v25 dst_sel:DWORD dst_unused:UNUSED_PAD src0_sel:WORD_1 src1_sel:DWORD
	v_fma_f16 v31, v15, v9, v25
	s_waitcnt lgkmcnt(0)
	v_lshrrev_b32_e32 v9, 16, v23
	ds_read2_b32 v[25:26], v6 offset0:4 offset1:254
	v_mul_f16_sdwa v15, v16, v23 dst_sel:DWORD dst_unused:UNUSED_PAD src0_sel:WORD_1 src1_sel:DWORD
	v_fma_f16 v32, v16, v9, -v15
	v_mul_f16_sdwa v9, v16, v9 dst_sel:DWORD dst_unused:UNUSED_PAD src0_sel:WORD_1 src1_sel:DWORD
	v_fma_f16 v23, v16, v23, v9
	ds_read2_b32 v[15:16], v14 offset1:250
	s_waitcnt lgkmcnt(1)
	v_lshrrev_b32_e32 v9, 16, v25
	v_mul_f16_sdwa v33, v17, v25 dst_sel:DWORD dst_unused:UNUSED_PAD src0_sel:WORD_1 src1_sel:DWORD
	v_fma_f16 v33, v17, v9, -v33
	v_mul_f16_sdwa v9, v17, v9 dst_sel:DWORD dst_unused:UNUSED_PAD src0_sel:WORD_1 src1_sel:DWORD
	v_fma_f16 v17, v17, v25, v9
	s_waitcnt lgkmcnt(0)
	v_lshrrev_b32_e32 v9, 16, v15
	v_mul_f16_sdwa v25, v18, v15 dst_sel:DWORD dst_unused:UNUSED_PAD src0_sel:WORD_1 src1_sel:DWORD
	v_fma_f16 v25, v18, v9, -v25
	v_mul_f16_sdwa v9, v18, v9 dst_sel:DWORD dst_unused:UNUSED_PAD src0_sel:WORD_1 src1_sel:DWORD
	v_fma_f16 v18, v18, v15, v9
	v_lshrrev_b32_e32 v9, 16, v10
	s_waitcnt vmcnt(0)
	v_mul_f16_sdwa v15, v19, v9 dst_sel:DWORD dst_unused:UNUSED_PAD src0_sel:WORD_1 src1_sel:DWORD
	v_fma_f16 v34, v19, v10, v15
	v_mul_f16_sdwa v10, v19, v10 dst_sel:DWORD dst_unused:UNUSED_PAD src0_sel:WORD_1 src1_sel:DWORD
	v_fma_f16 v19, v19, v9, -v10
	v_lshrrev_b32_e32 v9, 16, v24
	v_mul_f16_sdwa v10, v9, v20 dst_sel:DWORD dst_unused:UNUSED_PAD src0_sel:DWORD src1_sel:WORD_1
	v_fma_f16 v35, v24, v20, v10
	v_mul_f16_sdwa v10, v24, v20 dst_sel:DWORD dst_unused:UNUSED_PAD src0_sel:DWORD src1_sel:WORD_1
	v_fma_f16 v20, v9, v20, -v10
	v_lshrrev_b32_e32 v9, 16, v26
	v_mul_f16_sdwa v10, v9, v21 dst_sel:DWORD dst_unused:UNUSED_PAD src0_sel:DWORD src1_sel:WORD_1
	v_fma_f16 v24, v26, v21, v10
	v_mul_f16_sdwa v10, v26, v21 dst_sel:DWORD dst_unused:UNUSED_PAD src0_sel:DWORD src1_sel:WORD_1
	;; [unrolled: 5-line block ×3, first 2 shown]
	v_fma_f16 v16, v9, v22, -v10
	v_sub_f16_e32 v9, v31, v23
	v_sub_f16_e32 v10, v18, v17
	v_add_f16_e32 v22, v9, v10
	v_sub_f16_e32 v9, v30, v32
	v_sub_f16_e32 v10, v25, v33
	v_add_f16_e32 v36, v9, v10
	v_mov_b32_e32 v9, 2
	v_lshlrev_b32_sdwa v10, v9, v27 dst_sel:DWORD dst_unused:UNUSED_PAD src0_sel:DWORD src1_sel:BYTE_0
	ds_read_b32 v27, v0
	v_add3_u32 v11, 0, v11, v10
	v_lshlrev_b32_e32 v10, 2, v7
	v_add_u32_e32 v15, 0, v10
	ds_read_b32 v37, v15
	s_waitcnt lgkmcnt(1)
	v_lshrrev_b32_e32 v39, 16, v27
	v_add_f16_e32 v38, v27, v31
	v_add_f16_e32 v40, v39, v30
	;; [unrolled: 1-line block ×8, first 2 shown]
	v_pack_b32_f16 v38, v38, v40
	v_add_f16_e32 v40, v23, v17
	v_add_f16_e32 v44, v32, v33
	v_fma_f16 v40, v40, -0.5, v27
	v_sub_f16_e32 v41, v30, v25
	v_fma_f16 v44, v44, -0.5, v39
	v_sub_f16_e32 v45, v31, v18
	v_fma_f16 v42, v41, s6, v40
	v_sub_f16_e32 v43, v32, v33
	v_fma_f16 v46, v45, s7, v44
	;; [unrolled: 2-line block ×3, first 2 shown]
	v_fma_f16 v46, v47, s8, v46
	v_fma_f16 v42, v22, s4, v42
	;; [unrolled: 1-line block ×3, first 2 shown]
	v_pack_b32_f16 v42, v42, v46
	s_waitcnt lgkmcnt(0)
	s_barrier
	ds_write2_b32 v11, v38, v42 offset1:10
	v_add_f16_e32 v38, v31, v18
	v_fma_f16 v27, v38, -0.5, v27
	v_sub_f16_e32 v23, v23, v31
	v_sub_f16_e32 v17, v17, v18
	v_add_f16_e32 v17, v23, v17
	v_fma_f16 v18, v43, s7, v27
	v_fma_f16 v23, v43, s6, v27
	;; [unrolled: 1-line block ×6, first 2 shown]
	v_add_f16_e32 v23, v30, v25
	v_fma_f16 v23, v23, -0.5, v39
	v_sub_f16_e32 v27, v32, v30
	v_sub_f16_e32 v25, v33, v25
	v_add_f16_e32 v25, v27, v25
	v_fma_f16 v27, v47, s6, v23
	v_fma_f16 v23, v47, s7, v23
	;; [unrolled: 1-line block ×6, first 2 shown]
	v_pack_b32_f16 v18, v18, v27
	v_pack_b32_f16 v17, v17, v23
	ds_write2_b32 v11, v18, v17 offset0:20 offset1:30
	v_fma_f16 v17, v41, s7, v40
	v_fma_f16 v18, v45, s6, v44
	;; [unrolled: 1-line block ×6, first 2 shown]
	v_pack_b32_f16 v17, v17, v18
	ds_write_b32 v11, v17 offset:160
	v_sub_f16_e32 v11, v34, v35
	v_sub_f16_e32 v17, v26, v24
	v_add_f16_e32 v11, v11, v17
	v_sub_f16_e32 v17, v19, v20
	v_sub_f16_e32 v18, v16, v21
	v_add_f16_e32 v17, v17, v18
	v_lshlrev_b32_e32 v18, 2, v29
	v_mul_u32_u24_e32 v22, 0xc8, v28
	v_lshrrev_b32_e32 v23, 16, v37
	v_add3_u32 v18, 0, v22, v18
	v_add_f16_e32 v22, v37, v34
	v_add_f16_e32 v25, v23, v19
	;; [unrolled: 1-line block ×8, first 2 shown]
	v_pack_b32_f16 v22, v22, v25
	v_add_f16_e32 v25, v35, v24
	v_add_f16_e32 v30, v20, v21
	v_fma_f16 v25, v25, -0.5, v37
	v_sub_f16_e32 v27, v19, v16
	v_fma_f16 v30, v30, -0.5, v23
	v_sub_f16_e32 v31, v34, v26
	v_fma_f16 v28, v27, s6, v25
	v_sub_f16_e32 v29, v20, v21
	v_fma_f16 v32, v31, s7, v30
	;; [unrolled: 2-line block ×3, first 2 shown]
	v_fma_f16 v32, v33, s8, v32
	v_fma_f16 v28, v11, s4, v28
	;; [unrolled: 1-line block ×3, first 2 shown]
	v_pack_b32_f16 v28, v28, v32
	ds_write2_b32 v18, v22, v28 offset1:10
	v_fma_f16 v22, v27, s7, v25
	v_fma_f16 v22, v29, s8, v22
	;; [unrolled: 1-line block ×3, first 2 shown]
	v_add_f16_e32 v22, v34, v26
	v_fma_f16 v22, v22, -0.5, v37
	v_sub_f16_e32 v25, v35, v34
	v_sub_f16_e32 v24, v24, v26
	v_add_f16_e32 v24, v25, v24
	v_fma_f16 v25, v29, s7, v22
	v_fma_f16 v22, v29, s6, v22
	;; [unrolled: 1-line block ×9, first 2 shown]
	v_add_f16_e32 v24, v19, v16
	v_fma_f16 v23, v24, -0.5, v23
	v_sub_f16_e32 v19, v20, v19
	v_sub_f16_e32 v16, v21, v16
	v_add_f16_e32 v16, v19, v16
	v_fma_f16 v19, v33, s6, v23
	v_fma_f16 v20, v33, s7, v23
	v_pack_b32_f16 v11, v11, v17
	v_fma_f16 v19, v31, s8, v19
	v_fma_f16 v20, v31, s5, v20
	ds_write_b32 v18, v11 offset:160
	v_mov_b32_e32 v11, 41
	v_fma_f16 v19, v16, s4, v19
	v_fma_f16 v16, v16, s4, v20
	v_mul_lo_u16_sdwa v11, v5, v11 dst_sel:DWORD dst_unused:UNUSED_PAD src0_sel:BYTE_0 src1_sel:DWORD
	v_pack_b32_f16 v19, v25, v19
	v_pack_b32_f16 v16, v22, v16
	v_lshrrev_b16_e32 v11, 11, v11
	ds_write2_b32 v18, v19, v16 offset0:20 offset1:30
	v_mul_lo_u16_e32 v16, 50, v11
	v_sub_u16_e32 v26, v5, v16
	v_mov_b32_e32 v16, 9
	v_mul_u32_u24_sdwa v16, v26, v16 dst_sel:DWORD dst_unused:UNUSED_PAD src0_sel:BYTE_0 src1_sel:DWORD
	v_lshlrev_b32_e32 v24, 2, v16
	s_waitcnt lgkmcnt(0)
	s_barrier
	global_load_dwordx4 v[16:19], v24, s[12:13] offset:160
	global_load_dwordx4 v[20:23], v24, s[12:13] offset:176
	global_load_dword v27, v24, s[12:13] offset:192
	ds_read_b32 v28, v15
	ds_read_b32 v29, v0
	ds_read2_b32 v[24:25], v13 offset0:4 offset1:254
	v_lshlrev_b32_sdwa v9, v9, v26 dst_sel:DWORD dst_unused:UNUSED_PAD src0_sel:DWORD src1_sel:BYTE_0
	v_mul_u32_u24_e32 v11, 0x7d0, v11
	s_waitcnt lgkmcnt(2)
	v_lshrrev_b32_e32 v30, 16, v28
	s_waitcnt lgkmcnt(1)
	v_lshrrev_b32_e32 v26, 16, v29
	;; [unrolled: 2-line block ×3, first 2 shown]
	v_add3_u32 v9, 0, v11, v9
	s_waitcnt vmcnt(2)
	v_mul_f16_sdwa v31, v16, v30 dst_sel:DWORD dst_unused:UNUSED_PAD src0_sel:WORD_1 src1_sel:DWORD
	v_fma_f16 v31, v16, v28, v31
	v_mul_f16_sdwa v28, v16, v28 dst_sel:DWORD dst_unused:UNUSED_PAD src0_sel:WORD_1 src1_sel:DWORD
	v_fma_f16 v28, v16, v30, -v28
	v_lshrrev_b32_e32 v16, 16, v24
	v_mul_f16_sdwa v30, v17, v24 dst_sel:DWORD dst_unused:UNUSED_PAD src0_sel:WORD_1 src1_sel:DWORD
	v_fma_f16 v30, v17, v16, -v30
	v_mul_f16_sdwa v16, v17, v16 dst_sel:DWORD dst_unused:UNUSED_PAD src0_sel:WORD_1 src1_sel:DWORD
	v_fma_f16 v24, v17, v24, v16
	ds_read2_b32 v[16:17], v12 offset1:250
	v_mul_f16_sdwa v33, v18, v32 dst_sel:DWORD dst_unused:UNUSED_PAD src0_sel:WORD_1 src1_sel:DWORD
	v_fma_f16 v33, v18, v25, v33
	v_mul_f16_sdwa v25, v18, v25 dst_sel:DWORD dst_unused:UNUSED_PAD src0_sel:WORD_1 src1_sel:DWORD
	v_fma_f16 v25, v18, v32, -v25
	s_waitcnt lgkmcnt(0)
	v_lshrrev_b32_e32 v18, 16, v16
	v_mul_f16_sdwa v32, v19, v16 dst_sel:DWORD dst_unused:UNUSED_PAD src0_sel:WORD_1 src1_sel:DWORD
	v_fma_f16 v32, v19, v18, -v32
	v_mul_f16_sdwa v18, v19, v18 dst_sel:DWORD dst_unused:UNUSED_PAD src0_sel:WORD_1 src1_sel:DWORD
	v_fma_f16 v34, v19, v16, v18
	ds_read2_b32 v[18:19], v6 offset0:4 offset1:254
	v_lshrrev_b32_e32 v16, 16, v17
	s_waitcnt vmcnt(1)
	v_mul_f16_sdwa v35, v20, v16 dst_sel:DWORD dst_unused:UNUSED_PAD src0_sel:WORD_1 src1_sel:DWORD
	v_fma_f16 v35, v20, v17, v35
	v_mul_f16_sdwa v17, v20, v17 dst_sel:DWORD dst_unused:UNUSED_PAD src0_sel:WORD_1 src1_sel:DWORD
	v_fma_f16 v20, v20, v16, -v17
	s_waitcnt lgkmcnt(0)
	v_lshrrev_b32_e32 v16, 16, v18
	v_mul_f16_sdwa v17, v18, v21 dst_sel:DWORD dst_unused:UNUSED_PAD src0_sel:DWORD src1_sel:WORD_1
	v_fma_f16 v36, v16, v21, -v17
	v_mul_f16_sdwa v16, v16, v21 dst_sel:DWORD dst_unused:UNUSED_PAD src0_sel:DWORD src1_sel:WORD_1
	v_fma_f16 v18, v18, v21, v16
	ds_read2_b32 v[16:17], v14 offset1:250
	v_lshrrev_b32_e32 v21, 16, v19
	v_mul_f16_sdwa v37, v21, v22 dst_sel:DWORD dst_unused:UNUSED_PAD src0_sel:DWORD src1_sel:WORD_1
	v_fma_f16 v37, v19, v22, v37
	v_mul_f16_sdwa v19, v19, v22 dst_sel:DWORD dst_unused:UNUSED_PAD src0_sel:DWORD src1_sel:WORD_1
	v_fma_f16 v19, v21, v22, -v19
	s_waitcnt lgkmcnt(0)
	v_lshrrev_b32_e32 v21, 16, v16
	v_mul_f16_sdwa v22, v16, v23 dst_sel:DWORD dst_unused:UNUSED_PAD src0_sel:DWORD src1_sel:WORD_1
	v_fma_f16 v22, v21, v23, -v22
	v_mul_f16_sdwa v21, v21, v23 dst_sel:DWORD dst_unused:UNUSED_PAD src0_sel:DWORD src1_sel:WORD_1
	v_fma_f16 v16, v16, v23, v21
	v_lshrrev_b32_e32 v21, 16, v17
	s_waitcnt vmcnt(0)
	v_mul_f16_sdwa v23, v21, v27 dst_sel:DWORD dst_unused:UNUSED_PAD src0_sel:DWORD src1_sel:WORD_1
	v_fma_f16 v23, v17, v27, v23
	v_mul_f16_sdwa v17, v17, v27 dst_sel:DWORD dst_unused:UNUSED_PAD src0_sel:DWORD src1_sel:WORD_1
	v_fma_f16 v17, v21, v27, -v17
	v_sub_f16_e32 v21, v24, v34
	v_sub_f16_e32 v27, v16, v18
	v_add_f16_e32 v21, v21, v27
	v_sub_f16_e32 v27, v30, v32
	v_sub_f16_e32 v38, v22, v36
	v_add_f16_e32 v27, v27, v38
	;; [unrolled: 3-line block ×4, first 2 shown]
	v_add_f16_e32 v39, v39, v40
	v_add_f16_e32 v40, v35, v37
	v_fma_f16 v44, v44, -0.5, v28
	v_sub_f16_e32 v45, v33, v23
	v_fma_f16 v40, v40, -0.5, v31
	v_sub_f16_e32 v41, v25, v17
	v_fma_f16 v46, v45, s7, v44
	v_sub_f16_e32 v47, v35, v37
	v_fma_f16 v42, v41, s6, v40
	;; [unrolled: 2-line block ×3, first 2 shown]
	v_fma_f16 v42, v43, s5, v42
	v_fma_f16 v46, v39, s4, v46
	;; [unrolled: 1-line block ×3, first 2 shown]
	v_mul_f16_e32 v48, 0xb8b4, v46
	v_mul_f16_e32 v46, 0x3a79, v46
	v_fma_f16 v48, v42, s15, v48
	v_fma_f16 v42, v42, s8, v46
	v_add_f16_e32 v11, v29, v24
	v_add_f16_e32 v46, v26, v30
	;; [unrolled: 1-line block ×18, first 2 shown]
	v_pack_b32_f16 v51, v51, v52
	v_add_f16_e32 v52, v34, v18
	v_add_f16_e32 v56, v32, v36
	v_fma_f16 v52, v52, -0.5, v29
	v_sub_f16_e32 v53, v30, v22
	v_fma_f16 v56, v56, -0.5, v26
	v_sub_f16_e32 v57, v24, v16
	v_fma_f16 v54, v53, s6, v52
	v_sub_f16_e32 v55, v32, v36
	v_fma_f16 v58, v57, s7, v56
	v_sub_f16_e32 v59, v34, v18
	v_fma_f16 v54, v55, s5, v54
	v_fma_f16 v58, v59, s8, v58
	v_fma_f16 v54, v21, s4, v54
	;; [unrolled: 1-line block ×3, first 2 shown]
	v_add_f16_e32 v60, v54, v48
	v_add_f16_e32 v61, v58, v42
	v_pack_b32_f16 v60, v60, v61
	s_barrier
	ds_write2_b32 v9, v51, v60 offset1:50
	v_add_f16_e32 v51, v24, v16
	v_fma_f16 v29, v51, -0.5, v29
	v_sub_f16_e32 v24, v34, v24
	v_sub_f16_e32 v16, v18, v16
	v_add_f16_e32 v16, v24, v16
	v_fma_f16 v18, v55, s7, v29
	v_fma_f16 v24, v55, s6, v29
	v_fma_f16 v18, v53, s5, v18
	v_fma_f16 v24, v53, s8, v24
	v_fma_f16 v18, v16, s4, v18
	v_fma_f16 v16, v16, s4, v24
	v_add_f16_e32 v24, v30, v22
	v_fma_f16 v24, v24, -0.5, v26
	v_sub_f16_e32 v26, v32, v30
	v_sub_f16_e32 v22, v36, v22
	v_add_f16_e32 v22, v26, v22
	v_fma_f16 v26, v59, s6, v24
	v_fma_f16 v24, v59, s7, v24
	v_fma_f16 v26, v57, s8, v26
	v_fma_f16 v24, v57, s5, v24
	v_fma_f16 v26, v22, s4, v26
	v_fma_f16 v22, v22, s4, v24
	v_add_f16_e32 v24, v33, v23
	v_fma_f16 v24, v24, -0.5, v31
	v_sub_f16_e32 v29, v35, v33
	v_sub_f16_e32 v23, v37, v23
	v_add_f16_e32 v23, v29, v23
	v_fma_f16 v29, v43, s7, v24
	v_fma_f16 v24, v43, s6, v24
	v_fma_f16 v29, v41, s5, v29
	v_fma_f16 v24, v41, s8, v24
	v_fma_f16 v29, v23, s4, v29
	v_fma_f16 v23, v23, s4, v24
	v_add_f16_e32 v24, v25, v17
	v_fma_f16 v24, v24, -0.5, v28
	v_sub_f16_e32 v20, v20, v25
	v_sub_f16_e32 v17, v19, v17
	v_fma_f16 v19, v47, s6, v24
	v_add_f16_e32 v17, v20, v17
	v_fma_f16 v19, v45, s8, v19
	v_fma_f16 v20, v47, s7, v24
	;; [unrolled: 1-line block ×5, first 2 shown]
	v_mul_f16_e32 v20, 0xbb9c, v19
	v_mul_f16_e32 v19, 0x34f2, v19
	v_fma_f16 v20, v29, s4, v20
	v_fma_f16 v19, v29, s7, v19
	v_mul_f16_e32 v24, 0xbb9c, v17
	v_mul_f16_e32 v17, 0xb4f2, v17
	v_fma_f16 v24, v23, s9, v24
	v_fma_f16 v17, v23, s7, v17
	v_add_f16_e32 v23, v18, v20
	v_add_f16_e32 v25, v26, v19
	v_pack_b32_f16 v23, v23, v25
	v_add_f16_e32 v25, v16, v24
	v_add_f16_e32 v28, v22, v17
	v_pack_b32_f16 v25, v25, v28
	ds_write2_b32 v9, v23, v25 offset0:100 offset1:150
	v_fma_f16 v23, v53, s7, v52
	v_fma_f16 v23, v55, s8, v23
	v_fma_f16 v21, v21, s4, v23
	v_fma_f16 v23, v57, s6, v56
	v_fma_f16 v23, v59, s5, v23
	v_fma_f16 v23, v27, s4, v23
	v_fma_f16 v27, v45, s6, v44
	v_fma_f16 v25, v41, s7, v40
	v_fma_f16 v27, v47, s5, v27
	v_fma_f16 v25, v43, s8, v25
	v_fma_f16 v27, v39, s4, v27
	v_fma_f16 v25, v38, s4, v25
	v_mul_f16_e32 v28, 0xb8b4, v27
	v_mul_f16_e32 v27, 0xba79, v27
	v_fma_f16 v28, v25, s14, v28
	v_fma_f16 v25, v25, s8, v27
	v_sub_f16_e32 v11, v11, v49
	v_sub_f16_e32 v27, v46, v50
	v_add_f16_e32 v29, v21, v28
	v_add_f16_e32 v30, v23, v25
	v_pack_b32_f16 v29, v29, v30
	v_pack_b32_f16 v11, v11, v27
	ds_write2_b32 v9, v29, v11 offset0:200 offset1:250
	v_sub_f16_e32 v11, v54, v48
	v_sub_f16_e32 v18, v18, v20
	v_sub_f16_e32 v20, v58, v42
	v_sub_f16_e32 v19, v26, v19
	v_pack_b32_f16 v11, v11, v20
	v_pack_b32_f16 v18, v18, v19
	v_add_u32_e32 v9, 0x400, v9
	ds_write2_b32 v9, v11, v18 offset0:44 offset1:94
	v_sub_f16_e32 v11, v16, v24
	v_sub_f16_e32 v16, v21, v28
	;; [unrolled: 1-line block ×4, first 2 shown]
	v_pack_b32_f16 v11, v11, v17
	v_pack_b32_f16 v16, v16, v18
	ds_write2_b32 v9, v11, v16 offset0:144 offset1:194
	v_mov_b32_e32 v9, 0
	v_lshlrev_b64 v[16:17], 2, v[8:9]
	v_mov_b32_e32 v20, s13
	v_add_co_u32_e32 v16, vcc, s12, v16
	v_addc_co_u32_e32 v17, vcc, v20, v17, vcc
	s_waitcnt lgkmcnt(0)
	s_barrier
	global_load_dwordx4 v[16:19], v[16:17], off offset:1960
	v_mov_b32_e32 v11, v9
	v_lshlrev_b64 v[10:11], 2, v[10:11]
	v_add_co_u32_e32 v10, vcc, s12, v10
	v_addc_co_u32_e32 v11, vcc, v20, v11, vcc
	global_load_dwordx4 v[20:23], v[10:11], off offset:1960
	ds_read2_b32 v[10:11], v13 offset0:4 offset1:254
	ds_read2_b32 v[12:13], v12 offset1:250
	v_cmp_ne_u32_e32 vcc, 0, v5
	s_waitcnt lgkmcnt(1)
	v_lshrrev_b32_e32 v24, 16, v10
	s_waitcnt vmcnt(1)
	v_mul_f16_sdwa v25, v16, v10 dst_sel:DWORD dst_unused:UNUSED_PAD src0_sel:WORD_1 src1_sel:DWORD
	v_fma_f16 v26, v16, v24, -v25
	v_mul_f16_sdwa v24, v16, v24 dst_sel:DWORD dst_unused:UNUSED_PAD src0_sel:WORD_1 src1_sel:DWORD
	v_fma_f16 v10, v16, v10, v24
	s_waitcnt lgkmcnt(0)
	v_lshrrev_b32_e32 v16, 16, v12
	ds_read2_b32 v[24:25], v6 offset0:4 offset1:254
	v_mul_f16_sdwa v6, v17, v12 dst_sel:DWORD dst_unused:UNUSED_PAD src0_sel:WORD_1 src1_sel:DWORD
	v_fma_f16 v6, v17, v16, -v6
	v_mul_f16_sdwa v16, v17, v16 dst_sel:DWORD dst_unused:UNUSED_PAD src0_sel:WORD_1 src1_sel:DWORD
	v_fma_f16 v12, v17, v12, v16
	ds_read2_b32 v[16:17], v14 offset1:250
	s_waitcnt lgkmcnt(1)
	v_lshrrev_b32_e32 v27, 16, v24
	v_mul_f16_sdwa v14, v18, v24 dst_sel:DWORD dst_unused:UNUSED_PAD src0_sel:WORD_1 src1_sel:DWORD
	v_fma_f16 v14, v18, v27, -v14
	v_mul_f16_sdwa v27, v18, v27 dst_sel:DWORD dst_unused:UNUSED_PAD src0_sel:WORD_1 src1_sel:DWORD
	v_fma_f16 v18, v18, v24, v27
	s_waitcnt lgkmcnt(0)
	v_lshrrev_b32_e32 v24, 16, v16
	v_mul_f16_sdwa v27, v19, v16 dst_sel:DWORD dst_unused:UNUSED_PAD src0_sel:WORD_1 src1_sel:DWORD
	v_fma_f16 v27, v19, v24, -v27
	v_mul_f16_sdwa v24, v19, v24 dst_sel:DWORD dst_unused:UNUSED_PAD src0_sel:WORD_1 src1_sel:DWORD
	v_fma_f16 v16, v19, v16, v24
	v_lshrrev_b32_e32 v19, 16, v11
	s_waitcnt vmcnt(0)
	v_mul_f16_sdwa v24, v20, v19 dst_sel:DWORD dst_unused:UNUSED_PAD src0_sel:WORD_1 src1_sel:DWORD
	v_fma_f16 v24, v20, v11, v24
	v_mul_f16_sdwa v11, v20, v11 dst_sel:DWORD dst_unused:UNUSED_PAD src0_sel:WORD_1 src1_sel:DWORD
	v_fma_f16 v11, v20, v19, -v11
	v_lshrrev_b32_e32 v19, 16, v13
	v_mul_f16_sdwa v20, v19, v21 dst_sel:DWORD dst_unused:UNUSED_PAD src0_sel:DWORD src1_sel:WORD_1
	v_fma_f16 v20, v13, v21, v20
	v_mul_f16_sdwa v13, v13, v21 dst_sel:DWORD dst_unused:UNUSED_PAD src0_sel:DWORD src1_sel:WORD_1
	v_fma_f16 v13, v19, v21, -v13
	v_lshrrev_b32_e32 v19, 16, v25
	v_mul_f16_sdwa v21, v19, v22 dst_sel:DWORD dst_unused:UNUSED_PAD src0_sel:DWORD src1_sel:WORD_1
	v_fma_f16 v21, v25, v22, v21
	v_mul_f16_sdwa v25, v25, v22 dst_sel:DWORD dst_unused:UNUSED_PAD src0_sel:DWORD src1_sel:WORD_1
	;; [unrolled: 5-line block ×3, first 2 shown]
	v_fma_f16 v17, v22, v23, -v17
	ds_read_b32 v23, v0
	v_sub_f16_e32 v22, v10, v12
	v_sub_f16_e32 v28, v16, v18
	v_add_f16_e32 v29, v12, v18
	v_add_f16_e32 v22, v22, v28
	ds_read_b32 v28, v15
	s_waitcnt lgkmcnt(1)
	v_fma_f16 v29, v29, -0.5, v23
	v_sub_f16_e32 v30, v26, v27
	v_fma_f16 v31, v30, s6, v29
	v_sub_f16_e32 v32, v6, v14
	v_fma_f16 v29, v30, s7, v29
	v_fma_f16 v31, v32, s5, v31
	;; [unrolled: 1-line block ×5, first 2 shown]
	v_sub_f16_e32 v29, v12, v10
	v_sub_f16_e32 v33, v18, v16
	v_add_f16_e32 v29, v29, v33
	v_add_f16_e32 v33, v10, v16
	v_fma_f16 v33, v33, -0.5, v23
	v_fma_f16 v34, v32, s7, v33
	v_fma_f16 v32, v32, s6, v33
	v_fma_f16 v33, v30, s5, v34
	v_fma_f16 v30, v30, s8, v32
	v_fma_f16 v32, v29, s4, v33
	v_fma_f16 v29, v29, s4, v30
	v_add_f16_e32 v30, v23, v10
	v_add_f16_e32 v30, v30, v12
	;; [unrolled: 1-line block ×4, first 2 shown]
	v_sub_f16_e32 v10, v10, v16
	v_sub_f16_e32 v12, v12, v18
	;; [unrolled: 1-line block ×4, first 2 shown]
	v_add_f16_e32 v16, v16, v18
	v_lshrrev_b32_e32 v18, 16, v23
	v_add_f16_e32 v23, v6, v14
	v_fma_f16 v23, v23, -0.5, v18
	v_fma_f16 v33, v10, s7, v23
	v_fma_f16 v23, v10, s6, v23
	;; [unrolled: 1-line block ×6, first 2 shown]
	v_add_f16_e32 v23, v26, v27
	v_fma_f16 v23, v23, -0.5, v18
	v_add_f16_e32 v18, v18, v26
	v_add_f16_e32 v18, v18, v6
	v_sub_f16_e32 v6, v6, v26
	v_add_f16_e32 v18, v18, v14
	v_sub_f16_e32 v14, v14, v27
	v_add_f16_e32 v6, v6, v14
	v_fma_f16 v14, v12, s6, v23
	v_fma_f16 v12, v12, s7, v23
	;; [unrolled: 1-line block ×6, first 2 shown]
	v_sub_f16_e32 v10, v24, v20
	v_sub_f16_e32 v14, v25, v21
	v_add_f16_e32 v10, v10, v14
	v_add_f16_e32 v14, v20, v21
	s_waitcnt lgkmcnt(0)
	v_fma_f16 v14, v14, -0.5, v28
	v_sub_f16_e32 v23, v11, v17
	v_add_f16_e32 v18, v18, v27
	v_fma_f16 v26, v23, s6, v14
	v_sub_f16_e32 v27, v13, v19
	v_fma_f16 v14, v23, s7, v14
	v_fma_f16 v26, v27, s5, v26
	;; [unrolled: 1-line block ×5, first 2 shown]
	v_sub_f16_e32 v14, v20, v24
	v_sub_f16_e32 v34, v21, v25
	v_add_f16_e32 v14, v14, v34
	v_add_f16_e32 v34, v24, v25
	v_fma_f16 v34, v34, -0.5, v28
	v_fma_f16 v35, v27, s7, v34
	v_fma_f16 v27, v27, s6, v34
	;; [unrolled: 1-line block ×6, first 2 shown]
	v_add_f16_e32 v23, v28, v24
	v_add_f16_e32 v23, v23, v20
	;; [unrolled: 1-line block ×4, first 2 shown]
	v_sub_f16_e32 v24, v24, v25
	v_sub_f16_e32 v20, v20, v21
	;; [unrolled: 1-line block ×4, first 2 shown]
	v_add_f16_e32 v21, v21, v25
	v_lshrrev_b32_e32 v25, 16, v28
	v_add_f16_e32 v28, v13, v19
	v_fma_f16 v28, v28, -0.5, v25
	v_fma_f16 v34, v24, s7, v28
	v_fma_f16 v28, v24, s6, v28
	;; [unrolled: 1-line block ×6, first 2 shown]
	v_add_f16_e32 v28, v11, v17
	v_fma_f16 v28, v28, -0.5, v25
	v_add_f16_e32 v25, v25, v11
	v_add_f16_e32 v25, v25, v13
	v_sub_f16_e32 v11, v13, v11
	v_add_f16_e32 v13, v25, v19
	v_add_f16_e32 v13, v13, v17
	v_sub_f16_e32 v17, v19, v17
	v_pack_b32_f16 v6, v29, v6
	v_add_f16_e32 v11, v11, v17
	v_fma_f16 v17, v20, s6, v28
	v_pack_b32_f16 v18, v30, v18
	s_barrier
	ds_write_b32 v0, v6 offset:6000
	v_pack_b32_f16 v6, v22, v16
	v_fma_f16 v19, v20, s7, v28
	v_fma_f16 v17, v24, s8, v17
	ds_write_b32 v0, v18
	v_pack_b32_f16 v18, v31, v33
	v_pack_b32_f16 v12, v32, v12
	ds_write_b32 v0, v6 offset:8000
	v_pack_b32_f16 v6, v23, v13
	v_fma_f16 v19, v24, s5, v19
	v_fma_f16 v17, v11, s4, v17
	ds_write_b32 v0, v18 offset:2000
	ds_write_b32 v0, v12 offset:4000
	ds_write_b32 v15, v6
	v_pack_b32_f16 v6, v26, v34
	v_fma_f16 v11, v11, s4, v19
	ds_write_b32 v15, v6 offset:2000
	v_pack_b32_f16 v6, v27, v17
	ds_write_b32 v15, v6 offset:4000
	v_pack_b32_f16 v6, v14, v11
	;; [unrolled: 2-line block ×3, first 2 shown]
	ds_write_b32 v15, v6 offset:8000
	s_waitcnt lgkmcnt(0)
	s_barrier
	ds_read_b32 v17, v0
	s_add_u32 s6, s12, 0x26e8
	s_mov_b32 s8, 0xffff
	s_addc_u32 s7, s13, 0
	v_sub_u32_e32 v12, 0, v8
                                        ; implicit-def: $vgpr16
                                        ; implicit-def: $vgpr13
                                        ; implicit-def: $vgpr14
                                        ; implicit-def: $vgpr10_vgpr11
	s_and_saveexec_b64 s[4:5], vcc
	s_xor_b64 s[4:5], exec, s[4:5]
	s_cbranch_execz .LBB0_15
; %bb.14:
	v_mov_b32_e32 v6, v9
	v_lshlrev_b64 v[8:9], 2, v[5:6]
	v_mov_b32_e32 v10, s7
	v_add_co_u32_e32 v8, vcc, s6, v8
	v_addc_co_u32_e32 v9, vcc, v10, v9, vcc
	global_load_dword v8, v[8:9], off
	ds_read_b32 v9, v12 offset:10000
	s_waitcnt lgkmcnt(0)
	v_pk_add_f16 v10, v17, v9 neg_lo:[0,1] neg_hi:[0,1]
	v_pk_add_f16 v9, v9, v17
	v_bfi_b32 v11, s8, v10, v9
	v_bfi_b32 v9, s8, v9, v10
	v_pk_mul_f16 v10, v11, 0.5 op_sel_hi:[1,0]
	v_pk_mul_f16 v11, v9, 0.5 op_sel_hi:[1,0]
                                        ; implicit-def: $vgpr17
	s_waitcnt vmcnt(0)
	v_pk_mul_f16 v13, v8, v10 op_sel:[1,0]
	v_pk_mul_f16 v8, v8, v10 op_sel_hi:[0,1]
	v_pk_fma_f16 v9, v9, 0.5, v13 op_sel_hi:[1,0,1]
	v_sub_f16_e32 v10, v11, v13
	v_sub_f16_sdwa v11, v13, v11 dst_sel:DWORD dst_unused:UNUSED_PAD src0_sel:WORD_1 src1_sel:WORD_1
	v_pk_add_f16 v16, v9, v8 op_sel:[0,1] op_sel_hi:[1,0]
	v_pk_add_f16 v9, v9, v8 op_sel:[0,1] op_sel_hi:[1,0] neg_lo:[0,1] neg_hi:[0,1]
	v_sub_f16_sdwa v13, v10, v8 dst_sel:DWORD dst_unused:UNUSED_PAD src0_sel:DWORD src1_sel:WORD_1
	v_sub_f16_e32 v14, v11, v8
	v_mov_b32_e32 v11, v6
	v_bfi_b32 v16, s8, v16, v9
	v_mov_b32_e32 v10, v5
.LBB0_15:
	s_andn2_saveexec_b64 s[4:5], s[4:5]
	s_cbranch_execz .LBB0_17
; %bb.16:
	v_mov_b32_e32 v14, 0
	ds_read_u16 v6, v14 offset:5002
	s_waitcnt lgkmcnt(1)
	v_alignbit_b32 v8, s0, v17, 16
	v_mov_b32_e32 v10, 0
	v_pk_add_f16 v8, v8, v17
	v_sub_f16_sdwa v13, v17, v17 dst_sel:DWORD dst_unused:UNUSED_PAD src0_sel:DWORD src1_sel:WORD_1
	v_mov_b32_e32 v11, 0
	s_waitcnt lgkmcnt(0)
	v_xor_b32_e32 v6, 0x8000, v6
	v_pack_b32_f16 v16, v8, 0
	ds_write_b16 v14, v6 offset:5002
.LBB0_17:
	s_or_b64 exec, exec, s[4:5]
	v_mov_b32_e32 v8, 0
	v_lshlrev_b64 v[6:7], 2, v[7:8]
	v_mov_b32_e32 v9, s7
	v_add_co_u32_e32 v6, vcc, s6, v6
	v_addc_co_u32_e32 v7, vcc, v9, v7, vcc
	global_load_dword v9, v[6:7], off
	v_lshlrev_b64 v[6:7], 2, v[10:11]
	v_mov_b32_e32 v10, s7
	v_add_co_u32_e32 v6, vcc, s6, v6
	v_addc_co_u32_e32 v7, vcc, v10, v7, vcc
	global_load_dword v10, v[6:7], off offset:2000
	global_load_dword v11, v[6:7], off offset:3000
	ds_write_b16 v12, v14 offset:10002
	ds_write_b32 v0, v16
	ds_write_b16 v12, v13 offset:10000
	ds_read_b32 v13, v15
	ds_read_b32 v14, v12 offset:9000
	global_load_dword v6, v[6:7], off offset:4000
	s_mov_b32 s4, 0xffff
	s_waitcnt lgkmcnt(0)
	v_pk_add_f16 v7, v13, v14 neg_lo:[0,1] neg_hi:[0,1]
	v_pk_add_f16 v13, v13, v14
	v_bfi_b32 v14, s4, v7, v13
	v_bfi_b32 v7, s4, v13, v7
	v_pk_mul_f16 v13, v14, 0.5 op_sel_hi:[1,0]
	v_pk_mul_f16 v7, v7, 0.5 op_sel_hi:[1,0]
	s_waitcnt vmcnt(3)
	v_pk_fma_f16 v14, v9, v13, v7 op_sel:[1,0,0]
	v_pk_mul_f16 v16, v9, v13 op_sel_hi:[0,1]
	v_pk_fma_f16 v17, v9, v13, v7 op_sel:[1,0,0] neg_lo:[1,0,0] neg_hi:[1,0,0]
	v_pk_fma_f16 v7, v9, v13, v7 op_sel:[1,0,0] neg_lo:[0,0,1] neg_hi:[0,0,1]
	v_pk_add_f16 v9, v14, v16 op_sel:[0,1] op_sel_hi:[1,0]
	v_pk_add_f16 v13, v14, v16 op_sel:[0,1] op_sel_hi:[1,0] neg_lo:[0,1] neg_hi:[0,1]
	v_pk_add_f16 v14, v17, v16 op_sel:[0,1] op_sel_hi:[1,0] neg_lo:[0,1] neg_hi:[0,1]
	;; [unrolled: 1-line block ×3, first 2 shown]
	v_bfi_b32 v9, s4, v9, v13
	v_bfi_b32 v7, s4, v14, v7
	ds_write_b32 v15, v9
	ds_write_b32 v12, v7 offset:9000
	ds_read_b32 v7, v0 offset:2000
	ds_read_b32 v9, v12 offset:8000
	s_waitcnt lgkmcnt(0)
	v_pk_add_f16 v13, v7, v9 neg_lo:[0,1] neg_hi:[0,1]
	v_pk_add_f16 v7, v7, v9
	v_bfi_b32 v9, s4, v13, v7
	v_bfi_b32 v7, s4, v7, v13
	v_pk_mul_f16 v9, v9, 0.5 op_sel_hi:[1,0]
	v_pk_mul_f16 v13, v7, 0.5 op_sel_hi:[1,0]
	s_waitcnt vmcnt(2)
	v_pk_mul_f16 v14, v10, v9 op_sel:[1,0]
	v_pk_mul_f16 v9, v10, v9 op_sel_hi:[0,1]
	v_pk_fma_f16 v7, v7, 0.5, v14 op_sel_hi:[1,0,1]
	v_sub_f16_e32 v10, v13, v14
	v_sub_f16_sdwa v13, v14, v13 dst_sel:DWORD dst_unused:UNUSED_PAD src0_sel:WORD_1 src1_sel:WORD_1
	v_pk_add_f16 v14, v7, v9 op_sel:[0,1] op_sel_hi:[1,0]
	v_pk_add_f16 v7, v7, v9 op_sel:[0,1] op_sel_hi:[1,0] neg_lo:[0,1] neg_hi:[0,1]
	v_sub_f16_sdwa v10, v10, v9 dst_sel:DWORD dst_unused:UNUSED_PAD src0_sel:DWORD src1_sel:WORD_1
	v_sub_f16_e32 v9, v13, v9
	v_bfi_b32 v7, s4, v14, v7
	ds_write_b16 v12, v9 offset:8002
	ds_write_b32 v0, v7 offset:2000
	ds_write_b16 v12, v10 offset:8000
	ds_read_b32 v7, v0 offset:3000
	ds_read_b32 v9, v12 offset:7000
	s_waitcnt lgkmcnt(0)
	v_pk_add_f16 v10, v7, v9 neg_lo:[0,1] neg_hi:[0,1]
	v_pk_add_f16 v7, v7, v9
	v_bfi_b32 v9, s4, v10, v7
	v_bfi_b32 v7, s4, v7, v10
	v_pk_mul_f16 v9, v9, 0.5 op_sel_hi:[1,0]
	v_pk_mul_f16 v10, v7, 0.5 op_sel_hi:[1,0]
	s_waitcnt vmcnt(1)
	v_pk_mul_f16 v13, v11, v9 op_sel:[1,0]
	v_pk_mul_f16 v9, v11, v9 op_sel_hi:[0,1]
	v_pk_fma_f16 v7, v7, 0.5, v13 op_sel_hi:[1,0,1]
	v_sub_f16_e32 v11, v10, v13
	v_sub_f16_sdwa v10, v13, v10 dst_sel:DWORD dst_unused:UNUSED_PAD src0_sel:WORD_1 src1_sel:WORD_1
	v_pk_add_f16 v13, v7, v9 op_sel:[0,1] op_sel_hi:[1,0]
	v_pk_add_f16 v7, v7, v9 op_sel:[0,1] op_sel_hi:[1,0] neg_lo:[0,1] neg_hi:[0,1]
	v_sub_f16_sdwa v11, v11, v9 dst_sel:DWORD dst_unused:UNUSED_PAD src0_sel:DWORD src1_sel:WORD_1
	v_sub_f16_e32 v9, v10, v9
	v_bfi_b32 v7, s4, v13, v7
	ds_write_b16 v12, v9 offset:7002
	ds_write_b32 v0, v7 offset:3000
	ds_write_b16 v12, v11 offset:7000
	ds_read_b32 v7, v0 offset:4000
	ds_read_b32 v9, v12 offset:6000
	s_waitcnt lgkmcnt(0)
	v_pk_add_f16 v10, v7, v9 neg_lo:[0,1] neg_hi:[0,1]
	v_pk_add_f16 v7, v7, v9
	v_bfi_b32 v9, s4, v10, v7
	v_bfi_b32 v7, s4, v7, v10
	v_pk_mul_f16 v9, v9, 0.5 op_sel_hi:[1,0]
	v_pk_mul_f16 v7, v7, 0.5 op_sel_hi:[1,0]
	s_waitcnt vmcnt(0)
	v_pk_fma_f16 v10, v6, v9, v7 op_sel:[1,0,0]
	v_pk_mul_f16 v11, v6, v9 op_sel_hi:[0,1]
	v_pk_fma_f16 v13, v6, v9, v7 op_sel:[1,0,0] neg_lo:[1,0,0] neg_hi:[1,0,0]
	v_pk_fma_f16 v6, v6, v9, v7 op_sel:[1,0,0] neg_lo:[0,0,1] neg_hi:[0,0,1]
	v_pk_add_f16 v7, v10, v11 op_sel:[0,1] op_sel_hi:[1,0]
	v_pk_add_f16 v9, v10, v11 op_sel:[0,1] op_sel_hi:[1,0] neg_lo:[0,1] neg_hi:[0,1]
	v_pk_add_f16 v10, v13, v11 op_sel:[0,1] op_sel_hi:[1,0] neg_lo:[0,1] neg_hi:[0,1]
	;; [unrolled: 1-line block ×3, first 2 shown]
	v_bfi_b32 v7, s4, v7, v9
	v_bfi_b32 v6, s4, v10, v6
	ds_write_b32 v0, v7 offset:4000
	ds_write_b32 v12, v6 offset:6000
	s_waitcnt lgkmcnt(0)
	s_barrier
	s_and_saveexec_b64 s[4:5], s[0:1]
	s_cbranch_execz .LBB0_20
; %bb.18:
	v_mul_lo_u32 v0, s3, v3
	v_mul_lo_u32 v6, s2, v4
	v_mad_u64_u32 v[3:4], s[0:1], s2, v3, 0
	v_lshlrev_b64 v[1:2], 2, v[1:2]
	v_lshl_add_u32 v11, v5, 2, 0
	v_add3_u32 v4, v4, v6, v0
	v_lshlrev_b64 v[3:4], 2, v[3:4]
	v_mov_b32_e32 v0, s11
	v_add_co_u32_e32 v3, vcc, s10, v3
	v_addc_co_u32_e32 v0, vcc, v0, v4, vcc
	v_mov_b32_e32 v6, v8
	ds_read2_b32 v[9:10], v11 offset1:250
	v_add_co_u32_e32 v1, vcc, v3, v1
	v_addc_co_u32_e32 v0, vcc, v0, v2, vcc
	v_lshlrev_b64 v[2:3], 2, v[5:6]
	v_add_u32_e32 v7, 0xfa, v5
	v_add_co_u32_e32 v2, vcc, v1, v2
	v_addc_co_u32_e32 v3, vcc, v0, v3, vcc
	s_waitcnt lgkmcnt(0)
	global_store_dword v[2:3], v9, off
	v_lshlrev_b64 v[2:3], 2, v[7:8]
	v_add_u32_e32 v7, 0x1f4, v5
	v_add_co_u32_e32 v2, vcc, v1, v2
	v_addc_co_u32_e32 v3, vcc, v0, v3, vcc
	global_store_dword v[2:3], v10, off
	v_add_u32_e32 v2, 0x7c0, v11
	ds_read2_b32 v[2:3], v2 offset0:4 offset1:254
	v_lshlrev_b64 v[6:7], 2, v[7:8]
	s_movk_i32 s0, 0xf9
	v_add_co_u32_e32 v6, vcc, v1, v6
	v_addc_co_u32_e32 v7, vcc, v0, v7, vcc
	s_waitcnt lgkmcnt(0)
	global_store_dword v[6:7], v2, off
	v_add_u32_e32 v7, 0x2ee, v5
	v_lshlrev_b64 v[6:7], 2, v[7:8]
	v_add_u32_e32 v2, 0xfa0, v11
	v_add_co_u32_e32 v6, vcc, v1, v6
	v_addc_co_u32_e32 v7, vcc, v0, v7, vcc
	global_store_dword v[6:7], v3, off
	v_add_u32_e32 v7, 0x3e8, v5
	ds_read2_b32 v[2:3], v2 offset1:250
	v_lshlrev_b64 v[6:7], 2, v[7:8]
	v_add_co_u32_e32 v6, vcc, v1, v6
	v_addc_co_u32_e32 v7, vcc, v0, v7, vcc
	s_waitcnt lgkmcnt(0)
	global_store_dword v[6:7], v2, off
	v_add_u32_e32 v7, 0x4e2, v5
	v_lshlrev_b64 v[6:7], 2, v[7:8]
	v_add_u32_e32 v2, 0x1760, v11
	v_add_co_u32_e32 v6, vcc, v1, v6
	v_addc_co_u32_e32 v7, vcc, v0, v7, vcc
	global_store_dword v[6:7], v3, off
	v_add_u32_e32 v7, 0x5dc, v5
	ds_read2_b32 v[2:3], v2 offset0:4 offset1:254
	v_lshlrev_b64 v[6:7], 2, v[7:8]
	v_add_co_u32_e32 v6, vcc, v1, v6
	v_addc_co_u32_e32 v7, vcc, v0, v7, vcc
	s_waitcnt lgkmcnt(0)
	global_store_dword v[6:7], v2, off
	v_add_u32_e32 v7, 0x6d6, v5
	v_lshlrev_b64 v[6:7], 2, v[7:8]
	v_add_u32_e32 v2, 0x1f40, v11
	v_add_co_u32_e32 v6, vcc, v1, v6
	v_addc_co_u32_e32 v7, vcc, v0, v7, vcc
	global_store_dword v[6:7], v3, off
	v_add_u32_e32 v7, 0x7d0, v5
	ds_read2_b32 v[2:3], v2 offset1:250
	v_lshlrev_b64 v[6:7], 2, v[7:8]
	v_add_co_u32_e32 v6, vcc, v1, v6
	v_addc_co_u32_e32 v7, vcc, v0, v7, vcc
	s_waitcnt lgkmcnt(0)
	global_store_dword v[6:7], v2, off
	v_add_u32_e32 v7, 0x8ca, v5
	v_lshlrev_b64 v[6:7], 2, v[7:8]
	v_add_co_u32_e32 v6, vcc, v1, v6
	v_addc_co_u32_e32 v7, vcc, v0, v7, vcc
	v_cmp_eq_u32_e32 vcc, s0, v5
	global_store_dword v[6:7], v3, off
	s_and_b64 exec, exec, vcc
	s_cbranch_execz .LBB0_20
; %bb.19:
	v_mov_b32_e32 v2, 0
	ds_read_b32 v3, v2 offset:10000
	v_add_co_u32_e32 v1, vcc, 0x2000, v1
	v_addc_co_u32_e32 v2, vcc, 0, v0, vcc
	s_waitcnt lgkmcnt(0)
	global_store_dword v[1:2], v3, off offset:1808
.LBB0_20:
	s_endpgm
	.section	.rodata,"a",@progbits
	.p2align	6, 0x0
	.amdhsa_kernel fft_rtc_back_len2500_factors_10_5_10_5_wgs_250_tpt_250_halfLds_half_op_CI_CI_unitstride_sbrr_R2C_dirReg
		.amdhsa_group_segment_fixed_size 0
		.amdhsa_private_segment_fixed_size 0
		.amdhsa_kernarg_size 104
		.amdhsa_user_sgpr_count 6
		.amdhsa_user_sgpr_private_segment_buffer 1
		.amdhsa_user_sgpr_dispatch_ptr 0
		.amdhsa_user_sgpr_queue_ptr 0
		.amdhsa_user_sgpr_kernarg_segment_ptr 1
		.amdhsa_user_sgpr_dispatch_id 0
		.amdhsa_user_sgpr_flat_scratch_init 0
		.amdhsa_user_sgpr_private_segment_size 0
		.amdhsa_uses_dynamic_stack 0
		.amdhsa_system_sgpr_private_segment_wavefront_offset 0
		.amdhsa_system_sgpr_workgroup_id_x 1
		.amdhsa_system_sgpr_workgroup_id_y 0
		.amdhsa_system_sgpr_workgroup_id_z 0
		.amdhsa_system_sgpr_workgroup_info 0
		.amdhsa_system_vgpr_workitem_id 0
		.amdhsa_next_free_vgpr 62
		.amdhsa_next_free_sgpr 28
		.amdhsa_reserve_vcc 1
		.amdhsa_reserve_flat_scratch 0
		.amdhsa_float_round_mode_32 0
		.amdhsa_float_round_mode_16_64 0
		.amdhsa_float_denorm_mode_32 3
		.amdhsa_float_denorm_mode_16_64 3
		.amdhsa_dx10_clamp 1
		.amdhsa_ieee_mode 1
		.amdhsa_fp16_overflow 0
		.amdhsa_exception_fp_ieee_invalid_op 0
		.amdhsa_exception_fp_denorm_src 0
		.amdhsa_exception_fp_ieee_div_zero 0
		.amdhsa_exception_fp_ieee_overflow 0
		.amdhsa_exception_fp_ieee_underflow 0
		.amdhsa_exception_fp_ieee_inexact 0
		.amdhsa_exception_int_div_zero 0
	.end_amdhsa_kernel
	.text
.Lfunc_end0:
	.size	fft_rtc_back_len2500_factors_10_5_10_5_wgs_250_tpt_250_halfLds_half_op_CI_CI_unitstride_sbrr_R2C_dirReg, .Lfunc_end0-fft_rtc_back_len2500_factors_10_5_10_5_wgs_250_tpt_250_halfLds_half_op_CI_CI_unitstride_sbrr_R2C_dirReg
                                        ; -- End function
	.section	.AMDGPU.csdata,"",@progbits
; Kernel info:
; codeLenInByte = 8524
; NumSgprs: 32
; NumVgprs: 62
; ScratchSize: 0
; MemoryBound: 0
; FloatMode: 240
; IeeeMode: 1
; LDSByteSize: 0 bytes/workgroup (compile time only)
; SGPRBlocks: 3
; VGPRBlocks: 15
; NumSGPRsForWavesPerEU: 32
; NumVGPRsForWavesPerEU: 62
; Occupancy: 4
; WaveLimiterHint : 1
; COMPUTE_PGM_RSRC2:SCRATCH_EN: 0
; COMPUTE_PGM_RSRC2:USER_SGPR: 6
; COMPUTE_PGM_RSRC2:TRAP_HANDLER: 0
; COMPUTE_PGM_RSRC2:TGID_X_EN: 1
; COMPUTE_PGM_RSRC2:TGID_Y_EN: 0
; COMPUTE_PGM_RSRC2:TGID_Z_EN: 0
; COMPUTE_PGM_RSRC2:TIDIG_COMP_CNT: 0
	.type	__hip_cuid_56ff7c2759bce632,@object ; @__hip_cuid_56ff7c2759bce632
	.section	.bss,"aw",@nobits
	.globl	__hip_cuid_56ff7c2759bce632
__hip_cuid_56ff7c2759bce632:
	.byte	0                               ; 0x0
	.size	__hip_cuid_56ff7c2759bce632, 1

	.ident	"AMD clang version 19.0.0git (https://github.com/RadeonOpenCompute/llvm-project roc-6.4.0 25133 c7fe45cf4b819c5991fe208aaa96edf142730f1d)"
	.section	".note.GNU-stack","",@progbits
	.addrsig
	.addrsig_sym __hip_cuid_56ff7c2759bce632
	.amdgpu_metadata
---
amdhsa.kernels:
  - .args:
      - .actual_access:  read_only
        .address_space:  global
        .offset:         0
        .size:           8
        .value_kind:     global_buffer
      - .offset:         8
        .size:           8
        .value_kind:     by_value
      - .actual_access:  read_only
        .address_space:  global
        .offset:         16
        .size:           8
        .value_kind:     global_buffer
      - .actual_access:  read_only
        .address_space:  global
        .offset:         24
        .size:           8
        .value_kind:     global_buffer
      - .actual_access:  read_only
        .address_space:  global
        .offset:         32
        .size:           8
        .value_kind:     global_buffer
      - .offset:         40
        .size:           8
        .value_kind:     by_value
      - .actual_access:  read_only
        .address_space:  global
        .offset:         48
        .size:           8
        .value_kind:     global_buffer
      - .actual_access:  read_only
        .address_space:  global
        .offset:         56
        .size:           8
        .value_kind:     global_buffer
      - .offset:         64
        .size:           4
        .value_kind:     by_value
      - .actual_access:  read_only
        .address_space:  global
        .offset:         72
        .size:           8
        .value_kind:     global_buffer
      - .actual_access:  read_only
        .address_space:  global
        .offset:         80
        .size:           8
        .value_kind:     global_buffer
      - .actual_access:  read_only
        .address_space:  global
        .offset:         88
        .size:           8
        .value_kind:     global_buffer
      - .actual_access:  write_only
        .address_space:  global
        .offset:         96
        .size:           8
        .value_kind:     global_buffer
    .group_segment_fixed_size: 0
    .kernarg_segment_align: 8
    .kernarg_segment_size: 104
    .language:       OpenCL C
    .language_version:
      - 2
      - 0
    .max_flat_workgroup_size: 250
    .name:           fft_rtc_back_len2500_factors_10_5_10_5_wgs_250_tpt_250_halfLds_half_op_CI_CI_unitstride_sbrr_R2C_dirReg
    .private_segment_fixed_size: 0
    .sgpr_count:     32
    .sgpr_spill_count: 0
    .symbol:         fft_rtc_back_len2500_factors_10_5_10_5_wgs_250_tpt_250_halfLds_half_op_CI_CI_unitstride_sbrr_R2C_dirReg.kd
    .uniform_work_group_size: 1
    .uses_dynamic_stack: false
    .vgpr_count:     62
    .vgpr_spill_count: 0
    .wavefront_size: 64
amdhsa.target:   amdgcn-amd-amdhsa--gfx906
amdhsa.version:
  - 1
  - 2
...

	.end_amdgpu_metadata
